;; amdgpu-corpus repo=ROCm/rocFFT kind=compiled arch=gfx1201 opt=O3
	.text
	.amdgcn_target "amdgcn-amd-amdhsa--gfx1201"
	.amdhsa_code_object_version 6
	.protected	fft_rtc_fwd_len910_factors_13_2_7_5_wgs_182_tpt_91_half_ip_CI_unitstride_sbrr_C2R_dirReg ; -- Begin function fft_rtc_fwd_len910_factors_13_2_7_5_wgs_182_tpt_91_half_ip_CI_unitstride_sbrr_C2R_dirReg
	.globl	fft_rtc_fwd_len910_factors_13_2_7_5_wgs_182_tpt_91_half_ip_CI_unitstride_sbrr_C2R_dirReg
	.p2align	8
	.type	fft_rtc_fwd_len910_factors_13_2_7_5_wgs_182_tpt_91_half_ip_CI_unitstride_sbrr_C2R_dirReg,@function
fft_rtc_fwd_len910_factors_13_2_7_5_wgs_182_tpt_91_half_ip_CI_unitstride_sbrr_C2R_dirReg: ; @fft_rtc_fwd_len910_factors_13_2_7_5_wgs_182_tpt_91_half_ip_CI_unitstride_sbrr_C2R_dirReg
; %bb.0:
	s_clause 0x2
	s_load_b128 s[4:7], s[0:1], 0x0
	s_load_b64 s[8:9], s[0:1], 0x50
	s_load_b64 s[10:11], s[0:1], 0x18
	v_mul_u32_u24_e32 v1, 0x2d1, v0
	v_mov_b32_e32 v3, 0
	s_delay_alu instid0(VALU_DEP_2) | instskip(SKIP_2) | instid1(VALU_DEP_4)
	v_lshrrev_b32_e32 v9, 16, v1
	v_mov_b32_e32 v1, 0
	v_mov_b32_e32 v2, 0
	;; [unrolled: 1-line block ×3, first 2 shown]
	s_delay_alu instid0(VALU_DEP_4) | instskip(SKIP_2) | instid1(VALU_DEP_1)
	v_lshl_add_u32 v5, ttmp9, 1, v9
	s_wait_kmcnt 0x0
	v_cmp_lt_u64_e64 s2, s[6:7], 2
	s_and_b32 vcc_lo, exec_lo, s2
	s_cbranch_vccnz .LBB0_8
; %bb.1:
	s_load_b64 s[2:3], s[0:1], 0x10
	v_mov_b32_e32 v1, 0
	v_mov_b32_e32 v2, 0
	s_add_nc_u64 s[12:13], s[10:11], 8
	s_mov_b64 s[14:15], 1
	s_wait_kmcnt 0x0
	s_add_nc_u64 s[16:17], s[2:3], 8
	s_mov_b32 s3, 0
.LBB0_2:                                ; =>This Inner Loop Header: Depth=1
	s_load_b64 s[18:19], s[16:17], 0x0
                                        ; implicit-def: $vgpr7_vgpr8
	s_mov_b32 s2, exec_lo
	s_wait_kmcnt 0x0
	v_or_b32_e32 v4, s19, v6
	s_delay_alu instid0(VALU_DEP_1)
	v_cmpx_ne_u64_e32 0, v[3:4]
	s_wait_alu 0xfffe
	s_xor_b32 s20, exec_lo, s2
	s_cbranch_execz .LBB0_4
; %bb.3:                                ;   in Loop: Header=BB0_2 Depth=1
	s_cvt_f32_u32 s2, s18
	s_cvt_f32_u32 s21, s19
	s_sub_nc_u64 s[24:25], 0, s[18:19]
	s_wait_alu 0xfffe
	s_delay_alu instid0(SALU_CYCLE_1) | instskip(SKIP_1) | instid1(SALU_CYCLE_2)
	s_fmamk_f32 s2, s21, 0x4f800000, s2
	s_wait_alu 0xfffe
	v_s_rcp_f32 s2, s2
	s_delay_alu instid0(TRANS32_DEP_1) | instskip(SKIP_1) | instid1(SALU_CYCLE_2)
	s_mul_f32 s2, s2, 0x5f7ffffc
	s_wait_alu 0xfffe
	s_mul_f32 s21, s2, 0x2f800000
	s_wait_alu 0xfffe
	s_delay_alu instid0(SALU_CYCLE_2) | instskip(SKIP_1) | instid1(SALU_CYCLE_2)
	s_trunc_f32 s21, s21
	s_wait_alu 0xfffe
	s_fmamk_f32 s2, s21, 0xcf800000, s2
	s_cvt_u32_f32 s23, s21
	s_wait_alu 0xfffe
	s_delay_alu instid0(SALU_CYCLE_1) | instskip(SKIP_1) | instid1(SALU_CYCLE_2)
	s_cvt_u32_f32 s22, s2
	s_wait_alu 0xfffe
	s_mul_u64 s[26:27], s[24:25], s[22:23]
	s_wait_alu 0xfffe
	s_mul_hi_u32 s29, s22, s27
	s_mul_i32 s28, s22, s27
	s_mul_hi_u32 s2, s22, s26
	s_mul_i32 s30, s23, s26
	s_wait_alu 0xfffe
	s_add_nc_u64 s[28:29], s[2:3], s[28:29]
	s_mul_hi_u32 s21, s23, s26
	s_mul_hi_u32 s31, s23, s27
	s_add_co_u32 s2, s28, s30
	s_wait_alu 0xfffe
	s_add_co_ci_u32 s2, s29, s21
	s_mul_i32 s26, s23, s27
	s_add_co_ci_u32 s27, s31, 0
	s_wait_alu 0xfffe
	s_add_nc_u64 s[26:27], s[2:3], s[26:27]
	s_wait_alu 0xfffe
	v_add_co_u32 v4, s2, s22, s26
	s_delay_alu instid0(VALU_DEP_1) | instskip(SKIP_1) | instid1(VALU_DEP_1)
	s_cmp_lg_u32 s2, 0
	s_add_co_ci_u32 s23, s23, s27
	v_readfirstlane_b32 s22, v4
	s_wait_alu 0xfffe
	s_delay_alu instid0(VALU_DEP_1)
	s_mul_u64 s[24:25], s[24:25], s[22:23]
	s_wait_alu 0xfffe
	s_mul_hi_u32 s27, s22, s25
	s_mul_i32 s26, s22, s25
	s_mul_hi_u32 s2, s22, s24
	s_mul_i32 s28, s23, s24
	s_wait_alu 0xfffe
	s_add_nc_u64 s[26:27], s[2:3], s[26:27]
	s_mul_hi_u32 s21, s23, s24
	s_mul_hi_u32 s22, s23, s25
	s_wait_alu 0xfffe
	s_add_co_u32 s2, s26, s28
	s_add_co_ci_u32 s2, s27, s21
	s_mul_i32 s24, s23, s25
	s_add_co_ci_u32 s25, s22, 0
	s_wait_alu 0xfffe
	s_add_nc_u64 s[24:25], s[2:3], s[24:25]
	s_wait_alu 0xfffe
	v_add_co_u32 v4, s2, v4, s24
	s_delay_alu instid0(VALU_DEP_1) | instskip(SKIP_1) | instid1(VALU_DEP_1)
	s_cmp_lg_u32 s2, 0
	s_add_co_ci_u32 s2, s23, s25
	v_mul_hi_u32 v14, v5, v4
	s_wait_alu 0xfffe
	v_mad_co_u64_u32 v[7:8], null, v5, s2, 0
	v_mad_co_u64_u32 v[10:11], null, v6, v4, 0
	;; [unrolled: 1-line block ×3, first 2 shown]
	s_delay_alu instid0(VALU_DEP_3) | instskip(SKIP_1) | instid1(VALU_DEP_4)
	v_add_co_u32 v4, vcc_lo, v14, v7
	s_wait_alu 0xfffd
	v_add_co_ci_u32_e32 v7, vcc_lo, 0, v8, vcc_lo
	s_delay_alu instid0(VALU_DEP_2) | instskip(SKIP_1) | instid1(VALU_DEP_2)
	v_add_co_u32 v4, vcc_lo, v4, v10
	s_wait_alu 0xfffd
	v_add_co_ci_u32_e32 v4, vcc_lo, v7, v11, vcc_lo
	s_wait_alu 0xfffd
	v_add_co_ci_u32_e32 v7, vcc_lo, 0, v13, vcc_lo
	s_delay_alu instid0(VALU_DEP_2) | instskip(SKIP_1) | instid1(VALU_DEP_2)
	v_add_co_u32 v4, vcc_lo, v4, v12
	s_wait_alu 0xfffd
	v_add_co_ci_u32_e32 v10, vcc_lo, 0, v7, vcc_lo
	s_delay_alu instid0(VALU_DEP_2) | instskip(SKIP_1) | instid1(VALU_DEP_3)
	v_mul_lo_u32 v11, s19, v4
	v_mad_co_u64_u32 v[7:8], null, s18, v4, 0
	v_mul_lo_u32 v12, s18, v10
	s_delay_alu instid0(VALU_DEP_2) | instskip(NEXT) | instid1(VALU_DEP_2)
	v_sub_co_u32 v7, vcc_lo, v5, v7
	v_add3_u32 v8, v8, v12, v11
	s_delay_alu instid0(VALU_DEP_1) | instskip(SKIP_1) | instid1(VALU_DEP_1)
	v_sub_nc_u32_e32 v11, v6, v8
	s_wait_alu 0xfffd
	v_subrev_co_ci_u32_e64 v11, s2, s19, v11, vcc_lo
	v_add_co_u32 v12, s2, v4, 2
	s_wait_alu 0xf1ff
	v_add_co_ci_u32_e64 v13, s2, 0, v10, s2
	v_sub_co_u32 v14, s2, v7, s18
	v_sub_co_ci_u32_e32 v8, vcc_lo, v6, v8, vcc_lo
	s_wait_alu 0xf1ff
	v_subrev_co_ci_u32_e64 v11, s2, 0, v11, s2
	s_delay_alu instid0(VALU_DEP_3) | instskip(NEXT) | instid1(VALU_DEP_3)
	v_cmp_le_u32_e32 vcc_lo, s18, v14
	v_cmp_eq_u32_e64 s2, s19, v8
	s_wait_alu 0xfffd
	v_cndmask_b32_e64 v14, 0, -1, vcc_lo
	v_cmp_le_u32_e32 vcc_lo, s19, v11
	s_wait_alu 0xfffd
	v_cndmask_b32_e64 v15, 0, -1, vcc_lo
	v_cmp_le_u32_e32 vcc_lo, s18, v7
	;; [unrolled: 3-line block ×3, first 2 shown]
	s_wait_alu 0xfffd
	v_cndmask_b32_e64 v16, 0, -1, vcc_lo
	v_cmp_eq_u32_e32 vcc_lo, s19, v11
	s_wait_alu 0xf1ff
	s_delay_alu instid0(VALU_DEP_2)
	v_cndmask_b32_e64 v7, v16, v7, s2
	s_wait_alu 0xfffd
	v_cndmask_b32_e32 v11, v15, v14, vcc_lo
	v_add_co_u32 v14, vcc_lo, v4, 1
	s_wait_alu 0xfffd
	v_add_co_ci_u32_e32 v15, vcc_lo, 0, v10, vcc_lo
	s_delay_alu instid0(VALU_DEP_3) | instskip(SKIP_1) | instid1(VALU_DEP_2)
	v_cmp_ne_u32_e32 vcc_lo, 0, v11
	s_wait_alu 0xfffd
	v_dual_cndmask_b32 v8, v15, v13 :: v_dual_cndmask_b32 v11, v14, v12
	v_cmp_ne_u32_e32 vcc_lo, 0, v7
	s_wait_alu 0xfffd
	s_delay_alu instid0(VALU_DEP_2)
	v_dual_cndmask_b32 v8, v10, v8 :: v_dual_cndmask_b32 v7, v4, v11
.LBB0_4:                                ;   in Loop: Header=BB0_2 Depth=1
	s_wait_alu 0xfffe
	s_and_not1_saveexec_b32 s2, s20
	s_cbranch_execz .LBB0_6
; %bb.5:                                ;   in Loop: Header=BB0_2 Depth=1
	v_cvt_f32_u32_e32 v4, s18
	s_sub_co_i32 s20, 0, s18
	s_delay_alu instid0(VALU_DEP_1) | instskip(NEXT) | instid1(TRANS32_DEP_1)
	v_rcp_iflag_f32_e32 v4, v4
	v_mul_f32_e32 v4, 0x4f7ffffe, v4
	s_delay_alu instid0(VALU_DEP_1) | instskip(SKIP_1) | instid1(VALU_DEP_1)
	v_cvt_u32_f32_e32 v4, v4
	s_wait_alu 0xfffe
	v_mul_lo_u32 v7, s20, v4
	s_delay_alu instid0(VALU_DEP_1) | instskip(NEXT) | instid1(VALU_DEP_1)
	v_mul_hi_u32 v7, v4, v7
	v_add_nc_u32_e32 v4, v4, v7
	s_delay_alu instid0(VALU_DEP_1) | instskip(NEXT) | instid1(VALU_DEP_1)
	v_mul_hi_u32 v4, v5, v4
	v_mul_lo_u32 v7, v4, s18
	v_add_nc_u32_e32 v8, 1, v4
	s_delay_alu instid0(VALU_DEP_2) | instskip(NEXT) | instid1(VALU_DEP_1)
	v_sub_nc_u32_e32 v7, v5, v7
	v_subrev_nc_u32_e32 v10, s18, v7
	v_cmp_le_u32_e32 vcc_lo, s18, v7
	s_wait_alu 0xfffd
	s_delay_alu instid0(VALU_DEP_2) | instskip(NEXT) | instid1(VALU_DEP_1)
	v_dual_cndmask_b32 v7, v7, v10 :: v_dual_cndmask_b32 v4, v4, v8
	v_cmp_le_u32_e32 vcc_lo, s18, v7
	s_delay_alu instid0(VALU_DEP_2) | instskip(SKIP_1) | instid1(VALU_DEP_1)
	v_add_nc_u32_e32 v8, 1, v4
	s_wait_alu 0xfffd
	v_dual_cndmask_b32 v7, v4, v8 :: v_dual_mov_b32 v8, v3
.LBB0_6:                                ;   in Loop: Header=BB0_2 Depth=1
	s_wait_alu 0xfffe
	s_or_b32 exec_lo, exec_lo, s2
	s_load_b64 s[20:21], s[12:13], 0x0
	s_delay_alu instid0(VALU_DEP_1)
	v_mul_lo_u32 v4, v8, s18
	v_mul_lo_u32 v12, v7, s19
	v_mad_co_u64_u32 v[10:11], null, v7, s18, 0
	s_add_nc_u64 s[14:15], s[14:15], 1
	s_add_nc_u64 s[12:13], s[12:13], 8
	s_wait_alu 0xfffe
	v_cmp_ge_u64_e64 s2, s[14:15], s[6:7]
	s_add_nc_u64 s[16:17], s[16:17], 8
	s_delay_alu instid0(VALU_DEP_2) | instskip(NEXT) | instid1(VALU_DEP_3)
	v_add3_u32 v4, v11, v12, v4
	v_sub_co_u32 v5, vcc_lo, v5, v10
	s_wait_alu 0xfffd
	s_delay_alu instid0(VALU_DEP_2) | instskip(SKIP_3) | instid1(VALU_DEP_2)
	v_sub_co_ci_u32_e32 v4, vcc_lo, v6, v4, vcc_lo
	s_and_b32 vcc_lo, exec_lo, s2
	s_wait_kmcnt 0x0
	v_mul_lo_u32 v6, s21, v5
	v_mul_lo_u32 v4, s20, v4
	v_mad_co_u64_u32 v[1:2], null, s20, v5, v[1:2]
	s_delay_alu instid0(VALU_DEP_1)
	v_add3_u32 v2, v6, v2, v4
	s_wait_alu 0xfffe
	s_cbranch_vccnz .LBB0_9
; %bb.7:                                ;   in Loop: Header=BB0_2 Depth=1
	v_dual_mov_b32 v5, v7 :: v_dual_mov_b32 v6, v8
	s_branch .LBB0_2
.LBB0_8:
	v_dual_mov_b32 v8, v6 :: v_dual_mov_b32 v7, v5
.LBB0_9:
	s_lshl_b64 s[2:3], s[6:7], 3
	v_and_b32_e32 v6, 1, v9
	s_wait_alu 0xfffe
	s_add_nc_u64 s[2:3], s[10:11], s[2:3]
	v_mul_hi_u32 v3, 0x2d02d03, v0
	s_load_b64 s[2:3], s[2:3], 0x0
	s_load_b64 s[0:1], s[0:1], 0x20
	v_cmp_eq_u32_e32 vcc_lo, 1, v6
	s_delay_alu instid0(VALU_DEP_2) | instskip(SKIP_2) | instid1(VALU_DEP_2)
	v_mul_u32_u24_e32 v3, 0x5b, v3
	s_wait_alu 0xfffd
	v_cndmask_b32_e64 v9, 0, 0x38f, vcc_lo
	v_sub_nc_u32_e32 v0, v0, v3
	s_delay_alu instid0(VALU_DEP_2)
	v_lshlrev_b32_e32 v3, 2, v9
	s_wait_kmcnt 0x0
	v_mul_lo_u32 v4, s2, v8
	v_mul_lo_u32 v5, s3, v7
	v_mad_co_u64_u32 v[1:2], null, s2, v7, v[1:2]
	v_cmp_gt_u64_e32 vcc_lo, s[0:1], v[7:8]
	s_delay_alu instid0(VALU_DEP_2) | instskip(NEXT) | instid1(VALU_DEP_1)
	v_add3_u32 v2, v5, v2, v4
	v_lshlrev_b64_e32 v[4:5], 2, v[1:2]
	s_and_saveexec_b32 s1, vcc_lo
	s_cbranch_execz .LBB0_13
; %bb.10:
	v_mov_b32_e32 v1, 0
	s_mov_b32 s2, exec_lo
	s_delay_alu instid0(VALU_DEP_1) | instskip(SKIP_3) | instid1(VALU_DEP_2)
	v_lshlrev_b64_e32 v[6:7], 2, v[0:1]
	v_add_co_u32 v1, s0, s8, v4
	s_wait_alu 0xf1ff
	v_add_co_ci_u32_e64 v2, s0, s9, v5, s0
	v_add_co_u32 v6, s0, v1, v6
	s_wait_alu 0xf1ff
	s_delay_alu instid0(VALU_DEP_2)
	v_add_co_ci_u32_e64 v7, s0, v2, v7, s0
	s_clause 0x9
	global_load_b32 v8, v[6:7], off
	global_load_b32 v10, v[6:7], off offset:364
	global_load_b32 v11, v[6:7], off offset:728
	;; [unrolled: 1-line block ×9, first 2 shown]
	v_lshlrev_b32_e32 v6, 2, v0
	s_delay_alu instid0(VALU_DEP_1) | instskip(NEXT) | instid1(VALU_DEP_1)
	v_add3_u32 v6, 0, v3, v6
	v_add_nc_u32_e32 v18, 0x200, v6
	v_add_nc_u32_e32 v19, 0x400, v6
	;; [unrolled: 1-line block ×4, first 2 shown]
	s_wait_loadcnt 0x8
	ds_store_2addr_b32 v6, v8, v10 offset1:91
	s_wait_loadcnt 0x6
	ds_store_2addr_b32 v18, v11, v12 offset0:54 offset1:145
	s_wait_loadcnt 0x4
	ds_store_2addr_b32 v19, v13, v14 offset0:108 offset1:199
	;; [unrolled: 2-line block ×4, first 2 shown]
	v_cmpx_eq_u32_e32 0x5a, v0
	s_cbranch_execz .LBB0_12
; %bb.11:
	global_load_b32 v1, v[1:2], off offset:3640
	v_mov_b32_e32 v0, 0x5a
	s_wait_loadcnt 0x0
	ds_store_b32 v6, v1 offset:3280
.LBB0_12:
	s_wait_alu 0xfffe
	s_or_b32 exec_lo, exec_lo, s2
.LBB0_13:
	s_wait_alu 0xfffe
	s_or_b32 exec_lo, exec_lo, s1
	v_lshl_add_u32 v22, v9, 2, 0
	v_lshlrev_b32_e32 v2, 2, v0
	global_wb scope:SCOPE_SE
	s_wait_dscnt 0x0
	s_barrier_signal -1
	s_barrier_wait -1
	global_inv scope:SCOPE_SE
	v_add_nc_u32_e32 v23, v22, v2
	v_sub_nc_u32_e32 v10, v22, v2
	s_mov_b32 s1, exec_lo
                                        ; implicit-def: $vgpr6_vgpr7
	ds_load_u16 v12, v23
	ds_load_u16 v13, v10 offset:3640
	s_wait_dscnt 0x0
	v_add_f16_e32 v11, v13, v12
	v_sub_f16_e32 v8, v12, v13
	v_cmpx_ne_u32_e32 0, v0
	s_wait_alu 0xfffe
	s_xor_b32 s1, exec_lo, s1
	s_cbranch_execz .LBB0_15
; %bb.14:
	v_mov_b32_e32 v1, 0
	v_add_f16_e32 v11, v13, v12
	v_sub_f16_e32 v12, v12, v13
	s_delay_alu instid0(VALU_DEP_3) | instskip(NEXT) | instid1(VALU_DEP_1)
	v_lshlrev_b64_e32 v[6:7], 2, v[0:1]
	v_add_co_u32 v6, s0, s4, v6
	s_wait_alu 0xf1ff
	s_delay_alu instid0(VALU_DEP_2)
	v_add_co_ci_u32_e64 v7, s0, s5, v7, s0
	global_load_b32 v6, v[6:7], off offset:3588
	ds_load_u16 v7, v10 offset:3642
	ds_load_u16 v8, v23 offset:2
	s_wait_dscnt 0x0
	v_add_f16_e32 v13, v7, v8
	v_sub_f16_e32 v7, v8, v7
	s_wait_loadcnt 0x0
	v_lshrrev_b32_e32 v14, 16, v6
	s_delay_alu instid0(VALU_DEP_1) | instskip(NEXT) | instid1(VALU_DEP_3)
	v_fma_f16 v15, -v12, v14, v11
	v_fma_f16 v16, v13, v14, -v7
	v_fma_f16 v8, v13, v14, v7
	v_fma_f16 v11, v12, v14, v11
	s_delay_alu instid0(VALU_DEP_4) | instskip(NEXT) | instid1(VALU_DEP_4)
	v_fmac_f16_e32 v15, v6, v13
	v_fmac_f16_e32 v16, v12, v6
	s_delay_alu instid0(VALU_DEP_4) | instskip(NEXT) | instid1(VALU_DEP_4)
	v_fmac_f16_e32 v8, v12, v6
	v_fma_f16 v11, -v6, v13, v11
	v_dual_mov_b32 v7, v1 :: v_dual_mov_b32 v6, v0
	s_delay_alu instid0(VALU_DEP_4)
	v_pack_b32_f16 v12, v15, v16
	ds_store_b32 v10, v12 offset:3640
.LBB0_15:
	s_wait_alu 0xfffe
	s_and_not1_saveexec_b32 s0, s1
	s_cbranch_execz .LBB0_17
; %bb.16:
	ds_load_b32 v1, v22 offset:1820
	v_mov_b32_e32 v6, 0
	v_mov_b32_e32 v7, 0
	s_wait_dscnt 0x0
	v_pk_mul_f16 v1, 0xc0004000, v1
	ds_store_b32 v22, v1 offset:1820
.LBB0_17:
	s_wait_alu 0xfffe
	s_or_b32 exec_lo, exec_lo, s0
	v_lshlrev_b64_e32 v[6:7], 2, v[6:7]
	s_add_nc_u64 s[0:1], s[4:5], 0xe04
	v_lshl_add_u32 v30, v0, 2, 0
	s_wait_alu 0xfffe
	s_delay_alu instid0(VALU_DEP_2)
	v_add_co_u32 v6, s0, s0, v6
	s_wait_alu 0xf1ff
	v_add_co_ci_u32_e64 v7, s0, s1, v7, s0
	s_mov_b32 s1, exec_lo
	s_clause 0x3
	global_load_b32 v1, v[6:7], off offset:364
	global_load_b32 v12, v[6:7], off offset:728
	;; [unrolled: 1-line block ×4, first 2 shown]
	v_perm_b32 v7, v8, v11, 0x5040100
	ds_store_b32 v23, v7
	ds_load_b32 v7, v23 offset:364
	ds_load_b32 v8, v10 offset:3276
	s_wait_dscnt 0x1
	v_lshrrev_b32_e32 v11, 16, v7
	s_wait_dscnt 0x0
	v_lshrrev_b32_e32 v14, 16, v8
	v_add_f16_e32 v15, v7, v8
	v_sub_f16_e32 v7, v7, v8
	s_delay_alu instid0(VALU_DEP_3) | instskip(SKIP_3) | instid1(VALU_DEP_1)
	v_add_f16_e32 v8, v14, v11
	v_sub_f16_e32 v11, v11, v14
	s_wait_loadcnt 0x3
	v_lshrrev_b32_e32 v16, 16, v1
	v_fma_f16 v14, v7, v16, v15
	s_delay_alu instid0(VALU_DEP_3) | instskip(SKIP_2) | instid1(VALU_DEP_4)
	v_fma_f16 v17, v8, v16, v11
	v_fma_f16 v15, -v7, v16, v15
	v_fma_f16 v11, v8, v16, -v11
	v_fma_f16 v14, -v1, v8, v14
	s_delay_alu instid0(VALU_DEP_4) | instskip(NEXT) | instid1(VALU_DEP_4)
	v_fmac_f16_e32 v17, v7, v1
	v_fmac_f16_e32 v15, v1, v8
	s_delay_alu instid0(VALU_DEP_4) | instskip(NEXT) | instid1(VALU_DEP_3)
	v_fmac_f16_e32 v11, v7, v1
	v_pack_b32_f16 v1, v14, v17
	s_wait_loadcnt 0x2
	v_lshrrev_b32_e32 v14, 16, v12
	s_delay_alu instid0(VALU_DEP_3)
	v_pack_b32_f16 v7, v15, v11
	ds_store_b32 v23, v1 offset:364
	ds_store_b32 v10, v7 offset:3276
	ds_load_b32 v1, v23 offset:728
	ds_load_b32 v7, v10 offset:2912
	s_wait_dscnt 0x1
	v_lshrrev_b32_e32 v8, 16, v1
	s_wait_dscnt 0x0
	v_lshrrev_b32_e32 v11, 16, v7
	v_add_f16_e32 v15, v1, v7
	v_sub_f16_e32 v1, v1, v7
	s_delay_alu instid0(VALU_DEP_3) | instskip(SKIP_1) | instid1(VALU_DEP_3)
	v_add_f16_e32 v7, v11, v8
	v_sub_f16_e32 v8, v8, v11
	v_fma_f16 v11, v1, v14, v15
	v_fma_f16 v15, -v1, v14, v15
	s_delay_alu instid0(VALU_DEP_3) | instskip(SKIP_1) | instid1(VALU_DEP_4)
	v_fma_f16 v16, v7, v14, v8
	v_fma_f16 v8, v7, v14, -v8
	v_fma_f16 v11, -v12, v7, v11
	s_delay_alu instid0(VALU_DEP_4) | instskip(NEXT) | instid1(VALU_DEP_4)
	v_fmac_f16_e32 v15, v12, v7
	v_fmac_f16_e32 v16, v1, v12
	s_delay_alu instid0(VALU_DEP_4) | instskip(SKIP_2) | instid1(VALU_DEP_3)
	v_fmac_f16_e32 v8, v1, v12
	s_wait_loadcnt 0x1
	v_lshrrev_b32_e32 v12, 16, v13
	v_pack_b32_f16 v1, v11, v16
	s_delay_alu instid0(VALU_DEP_3)
	v_pack_b32_f16 v7, v15, v8
	ds_store_b32 v23, v1 offset:728
	ds_store_b32 v10, v7 offset:2912
	ds_load_b32 v1, v23 offset:1092
	ds_load_b32 v7, v10 offset:2548
	s_wait_dscnt 0x1
	v_lshrrev_b32_e32 v8, 16, v1
	s_wait_dscnt 0x0
	v_lshrrev_b32_e32 v11, 16, v7
	v_add_f16_e32 v14, v1, v7
	v_sub_f16_e32 v1, v1, v7
	s_delay_alu instid0(VALU_DEP_3) | instskip(SKIP_1) | instid1(VALU_DEP_3)
	v_add_f16_e32 v7, v11, v8
	v_sub_f16_e32 v8, v8, v11
	v_fma_f16 v11, v1, v12, v14
	v_fma_f16 v14, -v1, v12, v14
	s_delay_alu instid0(VALU_DEP_3) | instskip(SKIP_1) | instid1(VALU_DEP_4)
	v_fma_f16 v15, v7, v12, v8
	v_fma_f16 v8, v7, v12, -v8
	v_fma_f16 v11, -v13, v7, v11
	s_delay_alu instid0(VALU_DEP_4) | instskip(SKIP_4) | instid1(VALU_DEP_2)
	v_fmac_f16_e32 v14, v13, v7
	s_wait_loadcnt 0x0
	v_lshrrev_b32_e32 v12, 16, v6
	v_fmac_f16_e32 v15, v1, v13
	v_fmac_f16_e32 v8, v1, v13
	v_pack_b32_f16 v1, v11, v15
	s_delay_alu instid0(VALU_DEP_2)
	v_pack_b32_f16 v7, v14, v8
	ds_store_b32 v23, v1 offset:1092
	ds_store_b32 v10, v7 offset:2548
	ds_load_b32 v1, v23 offset:1456
	ds_load_b32 v7, v10 offset:2184
	s_wait_dscnt 0x1
	v_lshrrev_b32_e32 v8, 16, v1
	s_wait_dscnt 0x0
	v_lshrrev_b32_e32 v11, 16, v7
	v_add_f16_e32 v13, v1, v7
	v_sub_f16_e32 v1, v1, v7
	s_delay_alu instid0(VALU_DEP_3) | instskip(SKIP_1) | instid1(VALU_DEP_3)
	v_add_f16_e32 v7, v11, v8
	v_sub_f16_e32 v8, v8, v11
	v_fma_f16 v11, v1, v12, v13
	v_fma_f16 v13, -v1, v12, v13
	s_delay_alu instid0(VALU_DEP_3) | instskip(SKIP_1) | instid1(VALU_DEP_4)
	v_fma_f16 v14, v7, v12, v8
	v_fma_f16 v8, v7, v12, -v8
	v_fma_f16 v11, -v6, v7, v11
	s_delay_alu instid0(VALU_DEP_4) | instskip(NEXT) | instid1(VALU_DEP_4)
	v_fmac_f16_e32 v13, v6, v7
	v_fmac_f16_e32 v14, v1, v6
	s_delay_alu instid0(VALU_DEP_4) | instskip(SKIP_1) | instid1(VALU_DEP_3)
	v_fmac_f16_e32 v8, v1, v6
	v_lshl_add_u32 v1, v9, 2, v30
	v_pack_b32_f16 v6, v11, v14
	s_delay_alu instid0(VALU_DEP_3) | instskip(NEXT) | instid1(VALU_DEP_3)
	v_pack_b32_f16 v7, v13, v8
	v_add_nc_u32_e32 v9, 0xc00, v1
	ds_store_b32 v23, v6 offset:1456
	ds_store_b32 v10, v7 offset:2184
	global_wb scope:SCOPE_SE
	s_wait_dscnt 0x0
	s_barrier_signal -1
	s_barrier_wait -1
	global_inv scope:SCOPE_SE
	global_wb scope:SCOPE_SE
	s_barrier_signal -1
	s_barrier_wait -1
	global_inv scope:SCOPE_SE
	ds_load_2addr_b32 v[10:11], v9 offset0:2 offset1:72
	ds_load_2addr_b32 v[20:21], v1 offset0:70 offset1:140
	v_add_nc_u32_e32 v27, 0x200, v1
	v_add_nc_u32_e32 v8, 0x800, v1
	;; [unrolled: 1-line block ×3, first 2 shown]
	ds_load_b32 v41, v23
	v_add_nc_u32_e32 v28, 0x600, v1
	ds_load_2addr_b32 v[18:19], v27 offset0:82 offset1:152
	ds_load_2addr_b32 v[12:13], v8 offset0:118 offset1:188
	;; [unrolled: 1-line block ×4, first 2 shown]
	global_wb scope:SCOPE_SE
	s_wait_dscnt 0x0
	s_barrier_signal -1
	s_barrier_wait -1
	global_inv scope:SCOPE_SE
	v_pk_add_f16 v33, v11, v20
	v_pk_add_f16 v31, v20, v11 neg_lo:[0,1] neg_hi:[0,1]
	v_pk_add_f16 v36, v10, v21
	v_pk_add_f16 v32, v21, v10 neg_lo:[0,1] neg_hi:[0,1]
	v_lshrrev_b32_e32 v44, 16, v41
	v_pk_mul_f16 v6, 0x3b15388b, v33
	v_lshrrev_b32_e32 v92, 16, v31
	v_lshrrev_b32_e32 v86, 16, v33
	v_mul_f16_e32 v56, 0xba95, v31
	v_mul_f16_e32 v75, 0xbbf1, v31
	v_pk_add_f16 v35, v13, v18
	v_pk_add_f16 v34, v18, v13 neg_lo:[0,1] neg_hi:[0,1]
	v_lshrrev_b32_e32 v91, 16, v32
	v_pk_mul_f16 v7, 0x388bb5ac, v36
	v_lshrrev_b32_e32 v85, 16, v36
	v_mul_f16_e32 v55, 0xbb7b, v32
	v_mul_f16_e32 v74, 0xb3a8, v32
	;; [unrolled: 1-line block ×3, first 2 shown]
	v_pk_fma_f16 v48, 0xba95b770, v31, v6 op_sel:[0,0,1] op_sel_hi:[1,1,0] neg_lo:[0,1,0] neg_hi:[0,1,0]
	v_pk_fma_f16 v49, 0xba95b770, v31, v6 op_sel:[0,0,1] op_sel_hi:[1,1,0]
	v_fma_f16 v6, v86, 0x388b, -v56
	v_mul_f16_e32 v80, 0xbbf1, v92
	v_fma_f16 v93, v86, 0x2fb7, -v75
	v_pk_add_f16 v38, v12, v19
	v_pk_add_f16 v37, v19, v12 neg_lo:[0,1] neg_hi:[0,1]
	v_lshrrev_b32_e32 v90, 16, v34
	v_pk_mul_f16 v9, 0x2fb7bbc4, v35
	v_lshrrev_b32_e32 v84, 16, v35
	v_mul_f16_e32 v53, 0xb3a8, v34
	v_mul_f16_e32 v72, 0x3b7b, v34
	;; [unrolled: 1-line block ×3, first 2 shown]
	v_pk_fma_f16 v50, 0xbb7bba95, v32, v7 op_sel:[0,0,1] op_sel_hi:[1,1,0] neg_lo:[0,1,0] neg_hi:[0,1,0]
	v_pk_fma_f16 v51, 0xbb7bba95, v32, v7 op_sel:[0,0,1] op_sel_hi:[1,1,0]
	v_fma_f16 v7, v85, 0xb5ac, -v55
	v_mul_f16_e32 v81, 0xb3a8, v91
	v_fma_f16 v94, v85, 0xbbc4, -v74
	v_fmamk_f16 v99, v33, 0x3b15, v65
	v_add_f16_e32 v6, v44, v6
	v_fmamk_f16 v100, v33, 0x2fb7, v80
	v_add_f16_e32 v93, v44, v93
	v_lshrrev_b32_e32 v103, 16, v49
	v_pk_add_f16 v40, v15, v16
	v_pk_add_f16 v39, v16, v15 neg_lo:[0,1] neg_hi:[0,1]
	v_lshrrev_b32_e32 v89, 16, v37
	v_pk_mul_f16 v24, 0xb5acb9fd, v38
	v_lshrrev_b32_e32 v83, 16, v38
	v_mul_f16_e32 v46, 0x394e, v37
	v_mul_f16_e32 v61, 0xbbf1, v90
	v_pk_fma_f16 v52, 0xb3a8bbf1, v34, v9 op_sel:[0,0,1] op_sel_hi:[1,1,0] neg_lo:[0,1,0] neg_hi:[0,1,0]
	v_pk_fma_f16 v54, 0xb3a8bbf1, v34, v9 op_sel:[0,0,1] op_sel_hi:[1,1,0]
	v_fma_f16 v9, v84, 0xbbc4, -v53
	v_mul_f16_e32 v77, 0x3b7b, v90
	v_fma_f16 v95, v84, 0xb5ac, -v72
	v_fmamk_f16 v101, v36, 0x388b, v64
	v_fmamk_f16 v102, v36, 0xbbc4, v81
	v_lshrrev_b32_e32 v104, 16, v51
	v_add_f16_e32 v110, v44, v48
	v_add_f16_e32 v99, v41, v99
	v_add_f16_e32 v6, v7, v6
	v_add_f16_e32 v7, v41, v100
	v_add_f16_e32 v93, v94, v93
	v_add_f16_e32 v94, v41, v103
	v_pk_add_f16 v43, v14, v17
	v_pk_add_f16 v42, v17, v14 neg_lo:[0,1] neg_hi:[0,1]
	v_mul_f16_e32 v70, 0x3770, v37
	v_lshrrev_b32_e32 v88, 16, v39
	v_pk_mul_f16 v25, 0xb9fd2fb7, v40
	v_mul_f16_e32 v62, 0xbb7b, v89
	v_pk_fma_f16 v57, 0x394ebb7b, v37, v24 op_sel:[0,0,1] op_sel_hi:[1,1,0] neg_lo:[0,1,0] neg_hi:[0,1,0]
	v_pk_fma_f16 v58, 0x394ebb7b, v37, v24 op_sel:[0,0,1] op_sel_hi:[1,1,0]
	v_fma_f16 v24, v83, 0xb9fd, -v46
	v_mul_f16_e32 v78, 0x3770, v89
	v_fmamk_f16 v105, v35, 0x2fb7, v61
	v_fmamk_f16 v106, v35, 0xb5ac, v77
	v_lshrrev_b32_e32 v107, 16, v54
	v_add_f16_e32 v100, v50, v110
	v_add_f16_e32 v99, v101, v99
	;; [unrolled: 1-line block ×6, first 2 shown]
	v_lshrrev_b32_e32 v76, 16, v40
	v_mul_f16_e32 v45, 0x3bf1, v39
	v_mul_f16_e32 v69, 0xba95, v39
	v_lshrrev_b32_e32 v87, 16, v42
	v_pk_mul_f16 v26, 0xbbc43b15, v43
	v_fma_f16 v96, v83, 0x3b15, -v70
	v_mul_f16_e32 v63, 0xb94e, v88
	v_pk_fma_f16 v60, 0x3bf1b94e, v39, v25 op_sel:[0,0,1] op_sel_hi:[1,1,0]
	v_mul_f16_e32 v71, 0xba95, v88
	v_fmamk_f16 v108, v38, 0xb5ac, v62
	v_fmamk_f16 v109, v38, 0x3b15, v78
	v_lshrrev_b32_e32 v111, 16, v58
	v_add_f16_e32 v94, v52, v100
	v_add_f16_e32 v95, v105, v99
	;; [unrolled: 1-line block ×5, first 2 shown]
	v_lshrrev_b32_e32 v79, 16, v43
	v_mul_f16_e32 v47, 0x3770, v42
	v_mul_f16_e32 v73, 0xb94e, v42
	v_pk_fma_f16 v59, 0x3bf1b94e, v39, v25 op_sel:[0,0,1] op_sel_hi:[1,1,0] neg_lo:[0,1,0] neg_hi:[0,1,0]
	v_fma_f16 v25, v76, 0x2fb7, -v45
	v_fma_f16 v97, v76, 0x388b, -v69
	v_mul_f16_e32 v67, 0xb3a8, v87
	v_pk_fma_f16 v68, 0x3770b3a8, v42, v26 op_sel:[0,0,1] op_sel_hi:[1,1,0]
	v_mul_f16_e32 v82, 0xb94e, v87
	v_fmamk_f16 v112, v40, 0xb9fd, v63
	v_fmamk_f16 v113, v40, 0x388b, v71
	v_lshrrev_b32_e32 v114, 16, v60
	v_add_f16_e32 v9, v96, v9
	v_add_f16_e32 v93, v57, v94
	;; [unrolled: 1-line block ×5, first 2 shown]
	v_pk_fma_f16 v66, 0x3770b3a8, v42, v26 op_sel:[0,0,1] op_sel_hi:[1,1,0] neg_lo:[0,1,0] neg_hi:[0,1,0]
	v_fma_f16 v26, v79, 0x3b15, -v47
	v_fma_f16 v98, v79, 0xb9fd, -v73
	v_fmamk_f16 v115, v43, 0xbbc4, v67
	v_lshrrev_b32_e32 v116, 16, v68
	v_fmamk_f16 v117, v43, 0xb9fd, v82
	v_add_f16_e32 v6, v25, v6
	v_add_f16_e32 v9, v97, v9
	;; [unrolled: 1-line block ×12, first 2 shown]
	v_cmpx_gt_u32_e32 0x46, v0
	s_cbranch_execz .LBB0_19
; %bb.18:
	v_mul_f16_e32 v93, 0xb5ac, v86
	v_mul_f16_e32 v94, 0xb9fd, v85
	;; [unrolled: 1-line block ×5, first 2 shown]
	v_fmamk_f16 v98, v31, 0x3b7b, v93
	v_fmamk_f16 v102, v32, 0xb94e, v94
	;; [unrolled: 1-line block ×3, first 2 shown]
	v_mul_f16_e32 v99, 0x2fb7, v83
	v_mul_f16_e32 v100, 0x3770, v90
	v_add_f16_e32 v98, v44, v98
	v_fmamk_f16 v104, v36, 0xb9fd, v97
	v_add_f16_e32 v101, v41, v101
	v_fmamk_f16 v105, v34, 0xb770, v96
	v_mul_f16_e32 v103, 0xbbc4, v76
	v_add_f16_e32 v98, v102, v98
	v_mul_f16_e32 v102, 0xbbf1, v89
	v_fmamk_f16 v106, v35, 0x3b15, v100
	v_add_f16_e32 v101, v104, v101
	v_fmamk_f16 v104, v37, 0x3bf1, v99
	v_add_f16_e32 v98, v105, v98
	v_mul_f16_e32 v105, 0x388b, v79
	v_fmamk_f16 v107, v38, 0x2fb7, v102
	v_add_f16_e32 v101, v106, v101
	v_mul_f16_e32 v106, 0x33a8, v88
	v_add_f16_e32 v98, v104, v98
	v_mul_f16_e32 v104, 0xb9fd, v86
	v_fmamk_f16 v108, v39, 0xb3a8, v103
	v_add_f16_e32 v101, v107, v101
	v_fmamk_f16 v107, v40, 0xbbc4, v106
	v_fmamk_f16 v109, v42, 0xba95, v105
	;; [unrolled: 1-line block ×3, first 2 shown]
	v_mul_f16_e32 v111, 0x2fb7, v85
	v_add_f16_e32 v98, v108, v98
	v_mul_f16_e32 v92, 0xb94e, v92
	v_add_f16_e32 v101, v107, v101
	v_add_f16_e32 v107, v44, v110
	v_fmamk_f16 v108, v32, 0xbbf1, v111
	v_mul_f16_e32 v110, 0x388b, v84
	v_add_f16_e32 v98, v109, v98
	v_fmamk_f16 v109, v33, 0xb9fd, v92
	v_mul_f16_e32 v91, 0x3bf1, v91
	v_fmac_f16_e32 v104, 0xb94e, v31
	v_add_f16_e32 v107, v108, v107
	v_fmamk_f16 v108, v34, 0x3a95, v110
	v_mul_f16_e32 v112, 0xbbc4, v83
	v_add_f16_e32 v109, v41, v109
	v_fmamk_f16 v113, v36, 0x2fb7, v91
	v_mul_f16_e32 v90, 0xba95, v90
	v_fma_f16 v92, v33, 0xb9fd, -v92
	v_add_f16_e32 v104, v44, v104
	v_fmac_f16_e32 v111, 0x3bf1, v32
	v_add_f16_e32 v107, v108, v107
	v_fmamk_f16 v108, v37, 0xb3a8, v112
	v_mul_f16_e32 v114, 0x3b15, v76
	v_add_f16_e32 v109, v113, v109
	v_fmamk_f16 v113, v35, 0x388b, v90
	v_mul_f16_e32 v89, 0x33a8, v89
	v_add_f16_e32 v92, v41, v92
	v_fma_f16 v91, v36, 0x2fb7, -v91
	v_add_f16_e32 v104, v111, v104
	v_fmac_f16_e32 v110, 0xba95, v34
	v_add_f16_e32 v107, v108, v107
	v_fmamk_f16 v108, v39, 0xb770, v114
	v_add_f16_e32 v109, v113, v109
	v_fmamk_f16 v113, v38, 0xbbc4, v89
	v_mul_f16_e32 v88, 0x3770, v88
	v_mul_f16_e32 v111, 0x388b, v86
	v_add_f16_e32 v91, v91, v92
	v_fma_f16 v90, v35, 0x388b, -v90
	v_mul_f16_e32 v86, 0x2fb7, v86
	v_add_f16_e32 v104, v110, v104
	v_fmac_f16_e32 v112, 0x33a8, v37
	v_mul_f16_e32 v115, 0x3a95, v87
	v_add_f16_e32 v107, v108, v107
	v_add_f16_e32 v108, v113, v109
	v_fmamk_f16 v109, v40, 0x3b15, v88
	v_mul_f16_e32 v87, 0xbb7b, v87
	v_add_f16_e32 v90, v90, v91
	v_mul_f16_e32 v91, 0xb5ac, v85
	v_add_f16_e32 v104, v112, v104
	v_fmac_f16_e32 v114, 0x3770, v39
	v_mul_f16_e32 v85, 0xbbc4, v85
	v_fmac_f16_e32 v93, 0xbb7b, v31
	v_add_f16_e32 v75, v75, v86
	v_pk_add_f16 v20, v41, v20
	v_add_f16_e32 v108, v109, v108
	v_fmamk_f16 v109, v43, 0xb5ac, v87
	v_add_f16_e32 v104, v114, v104
	v_mul_f16_e32 v114, 0xbbc4, v84
	v_add_f16_e32 v93, v44, v93
	v_fmac_f16_e32 v94, 0x394e, v32
	v_mul_f16_e32 v84, 0xb5ac, v84
	v_add_f16_e32 v74, v74, v85
	v_add_f16_e32 v75, v44, v75
	;; [unrolled: 1-line block ×3, first 2 shown]
	v_pk_add_f16 v20, v20, v21
	v_mul_f16_e32 v117, 0xb5ac, v79
	v_add_f16_e32 v108, v109, v108
	v_mul_f16_e32 v109, 0x3b15, v33
	v_mul_f16_e32 v92, 0x2fb7, v33
	v_add_f16_e32 v93, v94, v93
	v_mul_f16_e32 v94, 0xb9fd, v83
	v_mul_f16_e32 v83, 0x3b15, v83
	v_add_f16_e32 v74, v74, v75
	v_add_f16_e32 v72, v72, v84
	;; [unrolled: 1-line block ×4, first 2 shown]
	v_pk_add_f16 v18, v20, v18
	v_fmamk_f16 v113, v42, 0x3b7b, v117
	v_mul_f16_e32 v110, 0x388b, v36
	v_fma_f16 v89, v38, 0xbbc4, -v89
	v_fma_f16 v95, v33, 0xb5ac, -v95
	v_add_f16_e32 v72, v72, v74
	v_add_f16_e32 v70, v70, v83
	v_sub_f16_e32 v80, v92, v80
	v_add_f16_e32 v44, v55, v44
	v_add_f16_e32 v53, v53, v114
	v_sub_f16_e32 v65, v109, v65
	v_pk_add_f16 v18, v18, v19
	v_fmamk_f16 v116, v43, 0x388b, v115
	v_add_f16_e32 v107, v113, v107
	v_alignbit_b32 v113, v41, v41, 16
	v_add_f16_e32 v89, v89, v90
	v_mul_f16_e32 v90, 0x2fb7, v35
	v_fmac_f16_e32 v96, 0x3770, v34
	v_add_f16_e32 v95, v41, v95
	v_add_f16_e32 v70, v70, v72
	;; [unrolled: 1-line block ×5, first 2 shown]
	v_sub_f16_e32 v53, v110, v64
	v_pk_add_f16 v16, v18, v16
	v_add_f16_e32 v101, v116, v101
	v_mul_f16_e32 v116, 0xb5ac, v38
	v_add_f16_e32 v93, v96, v93
	v_mul_f16_e32 v96, 0x2fb7, v76
	v_fma_f16 v97, v36, 0xb9fd, -v97
	v_add_f16_e32 v21, v46, v94
	v_add_f16_e32 v41, v53, v41
	v_sub_f16_e32 v19, v90, v61
	v_pk_add_f16 v16, v16, v17
	v_mul_f16_e32 v86, 0xb9fd, v40
	v_fmac_f16_e32 v99, 0xbbf1, v37
	v_add_f16_e32 v95, v97, v95
	v_mul_f16_e32 v97, 0x3b15, v79
	v_add_f16_e32 v20, v21, v44
	v_add_f16_e32 v21, v45, v96
	;; [unrolled: 1-line block ×3, first 2 shown]
	v_sub_f16_e32 v19, v116, v62
	v_pk_add_f16 v14, v16, v14
	v_mul_f16_e32 v112, 0xbbc4, v36
	v_fma_f16 v88, v40, 0x3b15, -v88
	v_mul_f16_e32 v76, 0x388b, v76
	v_add_f16_e32 v93, v99, v93
	v_mul_f16_e32 v99, 0xbbc4, v43
	v_add_f16_e32 v20, v21, v20
	v_add_f16_e32 v21, v47, v97
	;; [unrolled: 1-line block ×3, first 2 shown]
	v_sub_f16_e32 v19, v86, v63
	v_pk_add_f16 v14, v14, v15
	v_add_f16_e32 v88, v88, v89
	v_mul_f16_e32 v89, 0xb5ac, v35
	v_fma_f16 v87, v43, 0xb5ac, -v87
	v_add_f16_e32 v69, v69, v76
	v_sub_f16_e32 v76, v112, v81
	v_add_f16_e32 v20, v21, v20
	v_bfi_b32 v21, 0xffff, v49, v48
	v_add_f16_e32 v18, v19, v18
	v_sub_f16_e32 v19, v99, v67
	v_mul_u32_u24_e32 v15, 48, v0
	v_pk_mul_f16 v33, 0xbbc4, v33 op_sel_hi:[0,1]
	v_pk_add_f16 v12, v14, v12
	v_add_f16_e32 v87, v87, v88
	v_mul_f16_e32 v88, 0x3b15, v38
	v_add_f16_e32 v69, v69, v70
	v_add_f16_e32 v70, v76, v72
	v_sub_f16_e32 v72, v89, v77
	v_bfi_b32 v17, 0xffff, v51, v50
	v_add_f16_e32 v18, v19, v18
	v_add3_u32 v14, v30, v15, v3
	v_pk_add_f16 v15, v113, v21
	v_pk_fma_f16 v19, 0xb3a8, v31, v33 op_sel:[0,0,1] op_sel_hi:[0,1,0] neg_lo:[0,1,0] neg_hi:[0,1,0]
	v_pk_mul_f16 v21, 0x3b15, v36 op_sel_hi:[0,1]
	v_pk_add_f16 v12, v12, v13
	v_pk_fma_f16 v13, 0xb3a8, v31, v33 op_sel:[0,0,1] op_sel_hi:[0,1,0]
	v_mul_f16_e32 v85, 0x388b, v40
	v_add_f16_e32 v70, v72, v70
	v_sub_f16_e32 v72, v88, v78
	v_bfi_b32 v41, 0xffff, v54, v52
	v_pk_add_f16 v15, v17, v15
	v_pk_add_f16 v17, v113, v19
	v_pk_fma_f16 v19, 0x3770, v32, v21 op_sel:[0,0,1] op_sel_hi:[0,1,0] neg_lo:[0,1,0] neg_hi:[0,1,0]
	v_pk_mul_f16 v30, 0xb9fd, v35 op_sel_hi:[0,1]
	v_pk_add_f16 v13, v113, v13
	v_pk_fma_f16 v21, 0x3770, v32, v21 op_sel:[0,0,1] op_sel_hi:[0,1,0]
	v_fmac_f16_e32 v103, 0x33a8, v39
	v_fma_f16 v100, v35, 0x3b15, -v100
	v_mul_f16_e32 v75, 0xb9fd, v43
	v_add_f16_e32 v55, v72, v70
	v_sub_f16_e32 v70, v85, v71
	v_bfi_b32 v16, 0xffff, v58, v57
	v_pk_add_f16 v15, v41, v15
	v_pk_add_f16 v17, v19, v17
	v_pk_fma_f16 v19, 0xb94e, v34, v30 op_sel:[0,0,1] op_sel_hi:[0,1,0] neg_lo:[0,1,0] neg_hi:[0,1,0]
	v_pk_mul_f16 v31, 0x388b, v38 op_sel_hi:[0,1]
	v_pk_add_f16 v13, v21, v13
	v_pk_fma_f16 v21, 0xb94e, v34, v30 op_sel:[0,0,1] op_sel_hi:[0,1,0]
	v_add_f16_e32 v84, v103, v93
	v_fmac_f16_e32 v105, 0x3a95, v42
	v_add_f16_e32 v93, v100, v95
	v_fma_f16 v95, v38, 0x2fb7, -v102
	v_add_f16_e32 v46, v70, v55
	v_sub_f16_e32 v44, v75, v82
	v_bfi_b32 v45, 0xffff, v60, v59
	v_pk_add_f16 v15, v16, v15
	v_pk_add_f16 v16, v19, v17
	v_pk_fma_f16 v17, 0x3a95, v37, v31 op_sel:[0,0,1] op_sel_hi:[0,1,0] neg_lo:[0,1,0] neg_hi:[0,1,0]
	v_pk_mul_f16 v19, 0xb5ac, v40 op_sel_hi:[0,1]
	v_pk_add_f16 v13, v21, v13
	v_pk_fma_f16 v21, 0x3a95, v37, v31 op_sel:[0,0,1] op_sel_hi:[0,1,0]
	v_mul_f16_e32 v79, 0xb9fd, v79
	v_add_f16_e32 v74, v105, v84
	v_add_f16_e32 v83, v95, v93
	v_fma_f16 v84, v40, 0xbbc4, -v106
	v_fmac_f16_e32 v117, 0xbb7b, v42
	v_add_f16_e32 v44, v44, v46
	v_bfi_b32 v46, 0xffff, v68, v66
	v_pk_add_f16 v15, v45, v15
	v_pk_add_f16 v16, v17, v16
	v_pk_fma_f16 v17, 0xbb7b, v39, v19 op_sel:[0,0,1] op_sel_hi:[0,1,0] neg_lo:[0,1,0] neg_hi:[0,1,0]
	v_pk_mul_f16 v30, 0x2fb7, v43 op_sel_hi:[0,1]
	v_pk_add_f16 v13, v21, v13
	v_pk_fma_f16 v19, 0xbb7b, v39, v19 op_sel:[0,0,1] op_sel_hi:[0,1,0]
	v_add_f16_e32 v80, v84, v83
	v_fma_f16 v81, v43, 0x388b, -v115
	v_add_f16_e32 v73, v73, v79
	v_add_f16_e32 v104, v117, v104
	v_pk_add_f16 v10, v12, v10
	v_pk_add_f16 v12, v46, v15
	;; [unrolled: 1-line block ×3, first 2 shown]
	v_pk_fma_f16 v16, 0x3bf1, v42, v30 op_sel:[0,0,1] op_sel_hi:[0,1,0] neg_lo:[0,1,0] neg_hi:[0,1,0]
	v_pk_add_f16 v13, v19, v13
	v_pk_fma_f16 v17, 0x3bf1, v42, v30 op_sel:[0,0,1] op_sel_hi:[0,1,0]
	v_add_f16_e32 v56, v81, v80
	v_add_f16_e32 v69, v73, v69
	v_pk_add_f16 v10, v10, v11
	v_pack_b32_f16 v19, v87, v104
	v_pk_add_f16 v15, v16, v15
	v_pk_add_f16 v13, v17, v13
	v_alignbit_b32 v11, v20, v12, 16
	v_pack_b32_f16 v12, v18, v12
	v_pack_b32_f16 v16, v44, v69
	v_pack_b32_f16 v17, v56, v74
	ds_store_2addr_b32 v14, v10, v19 offset1:5
	v_alignbit_b32 v10, v15, v13, 16
	v_alignbit_b32 v13, v13, v15, 16
	v_pack_b32_f16 v15, v101, v98
	v_pack_b32_f16 v18, v108, v107
	v_perm_b32 v19, v24, v6, 0x5040100
	v_perm_b32 v20, v25, v9, 0x5040100
	;; [unrolled: 1-line block ×3, first 2 shown]
	ds_store_2addr_b32 v14, v12, v11 offset0:1 offset1:2
	ds_store_2addr_b32 v14, v16, v17 offset0:3 offset1:4
	;; [unrolled: 1-line block ×5, first 2 shown]
	ds_store_b32 v14, v21 offset:48
.LBB0_19:
	s_wait_alu 0xfffe
	s_or_b32 exec_lo, exec_lo, s1
	v_add_nc_u32_e32 v12, 0x16c, v0
	v_add_nc_u32_e32 v11, 0x111, v0
	;; [unrolled: 1-line block ×4, first 2 shown]
	v_and_b32_e32 v17, 0xff, v0
	v_and_b32_e32 v13, 0xffff, v12
	;; [unrolled: 1-line block ×5, first 2 shown]
	v_mul_lo_u16 v31, 0x4f, v17
	v_mul_u32_u24_e32 v13, 0x4ec5, v13
	v_mul_u32_u24_e32 v14, 0x4ec5, v14
	;; [unrolled: 1-line block ×3, first 2 shown]
	v_mul_lo_u16 v20, 0x4f, v16
	global_wb scope:SCOPE_SE
	s_wait_dscnt 0x0
	v_lshrrev_b32_e32 v19, 18, v13
	v_lshrrev_b32_e32 v21, 18, v14
	;; [unrolled: 1-line block ×3, first 2 shown]
	v_lshrrev_b16 v14, 10, v20
	v_lshrrev_b16 v15, 10, v31
	v_mul_lo_u16 v13, v19, 13
	v_mul_lo_u16 v16, v21, 13
	;; [unrolled: 1-line block ×5, first 2 shown]
	v_sub_nc_u16 v12, v12, v13
	v_sub_nc_u16 v11, v11, v16
	;; [unrolled: 1-line block ×5, first 2 shown]
	v_and_b32_e32 v12, 0xffff, v12
	v_and_b32_e32 v11, 0xffff, v11
	;; [unrolled: 1-line block ×5, first 2 shown]
	v_lshlrev_b32_e32 v32, 2, v12
	v_lshlrev_b32_e32 v33, 2, v11
	;; [unrolled: 1-line block ×5, first 2 shown]
	s_barrier_signal -1
	s_barrier_wait -1
	global_inv scope:SCOPE_SE
	s_clause 0x4
	global_load_b32 v37, v32, s[4:5]
	global_load_b32 v38, v33, s[4:5]
	global_load_b32 v39, v34, s[4:5]
	global_load_b32 v40, v35, s[4:5]
	global_load_b32 v41, v36, s[4:5]
	ds_load_2addr_b32 v[10:11], v28 offset0:71 offset1:162
	ds_load_2addr_b32 v[12:13], v8 offset0:125 offset1:216
	ds_load_b32 v42, v23
	ds_load_b32 v8, v1 offset:3276
	v_and_b32_e32 v44, 0xffff, v14
	v_and_b32_e32 v43, 0xffff, v15
	ds_load_2addr_b32 v[14:15], v1 offset0:91 offset1:182
	ds_load_2addr_b32 v[16:17], v29 offset0:17 offset1:108
	v_mad_u32_u24 v30, 0x68, v30, 0
	v_mad_u32_u24 v21, 0x68, v21, 0
	;; [unrolled: 1-line block ×5, first 2 shown]
	v_add3_u32 v30, v30, v34, v3
	v_add3_u32 v21, v21, v33, v3
	;; [unrolled: 1-line block ×5, first 2 shown]
	v_add_nc_u32_e32 v29, 0xa00, v1
	global_wb scope:SCOPE_SE
	s_wait_loadcnt_dscnt 0x0
	s_barrier_signal -1
	s_barrier_wait -1
	global_inv scope:SCOPE_SE
	v_cmp_gt_u32_e64 s0, 39, v0
	v_pk_mul_f16 v32, v37, v8 op_sel:[0,1]
	v_pk_mul_f16 v33, v38, v13 op_sel:[0,1]
	;; [unrolled: 1-line block ×5, first 2 shown]
	v_pk_fma_f16 v45, v37, v8, v32 op_sel:[0,0,1] op_sel_hi:[1,1,0] neg_lo:[0,0,1] neg_hi:[0,0,1]
	v_pk_fma_f16 v46, v38, v13, v33 op_sel:[0,0,1] op_sel_hi:[1,1,0] neg_lo:[0,0,1] neg_hi:[0,0,1]
	;; [unrolled: 1-line block ×5, first 2 shown]
	v_pk_fma_f16 v10, v41, v10, v44 op_sel:[0,0,1] op_sel_hi:[1,0,0]
	v_pk_fma_f16 v11, v40, v11, v43 op_sel:[0,0,1] op_sel_hi:[1,0,0]
	;; [unrolled: 1-line block ×5, first 2 shown]
	v_bfi_b32 v10, 0xffff, v49, v10
	v_bfi_b32 v11, 0xffff, v48, v11
	v_bfi_b32 v12, 0xffff, v47, v12
	v_bfi_b32 v13, 0xffff, v46, v13
	v_bfi_b32 v8, 0xffff, v45, v8
	v_pk_add_f16 v32, v42, v10 neg_lo:[0,1] neg_hi:[0,1]
	v_pk_add_f16 v33, v14, v11 neg_lo:[0,1] neg_hi:[0,1]
	;; [unrolled: 1-line block ×5, first 2 shown]
	v_pk_fma_f16 v13, v42, 2.0, v32 op_sel_hi:[1,0,1] neg_lo:[0,0,1] neg_hi:[0,0,1]
	v_pk_fma_f16 v14, v14, 2.0, v33 op_sel_hi:[1,0,1] neg_lo:[0,0,1] neg_hi:[0,0,1]
	;; [unrolled: 1-line block ×5, first 2 shown]
	ds_store_2addr_b32 v36, v13, v32 offset1:13
	ds_store_2addr_b32 v35, v14, v33 offset1:13
	;; [unrolled: 1-line block ×5, first 2 shown]
	global_wb scope:SCOPE_SE
	s_wait_dscnt 0x0
	s_barrier_signal -1
	s_barrier_wait -1
	global_inv scope:SCOPE_SE
	ds_load_b32 v30, v23
	ds_load_2addr_b32 v[16:17], v27 offset0:2 offset1:132
	ds_load_2addr_b32 v[14:15], v28 offset0:6 offset1:136
	;; [unrolled: 1-line block ×3, first 2 shown]
	v_lshrrev_b32_e32 v27, 16, v11
	v_lshrrev_b32_e32 v21, 16, v8
	;; [unrolled: 1-line block ×3, first 2 shown]
                                        ; implicit-def: $vgpr28
                                        ; implicit-def: $vgpr29
	s_and_saveexec_b32 s1, s0
	s_cbranch_execz .LBB0_21
; %bb.20:
	v_add_nc_u32_e32 v6, 0x400, v1
	v_add_nc_u32_e32 v7, 0x800, v1
	ds_load_2addr_b32 v[10:11], v1 offset0:91 offset1:221
	ds_load_b32 v29, v1 offset:3484
	ds_load_2addr_b32 v[8:9], v6 offset0:95 offset1:225
	ds_load_2addr_b32 v[6:7], v7 offset0:99 offset1:229
	ds_load_u16 v21, v1 offset:1406
	s_wait_dscnt 0x4
	v_lshrrev_b32_e32 v19, 16, v10
	s_wait_dscnt 0x3
	v_lshrrev_b32_e32 v28, 16, v29
	;; [unrolled: 2-line block ×4, first 2 shown]
	v_lshrrev_b32_e32 v26, 16, v7
	v_lshrrev_b32_e32 v27, 16, v11
.LBB0_21:
	s_wait_alu 0xfffe
	s_or_b32 exec_lo, exec_lo, s1
	v_lshrrev_b16 v37, 11, v31
	s_wait_dscnt 0x2
	v_lshrrev_b32_e32 v39, 16, v16
	v_lshrrev_b32_e32 v40, 16, v17
	s_wait_dscnt 0x0
	v_lshrrev_b32_e32 v43, 16, v12
	v_lshrrev_b32_e32 v44, 16, v13
	v_mul_lo_u16 v31, v37, 26
	v_and_b32_e32 v37, 0xffff, v37
	v_lshrrev_b32_e32 v41, 16, v14
	v_lshrrev_b32_e32 v42, 16, v15
	;; [unrolled: 1-line block ×3, first 2 shown]
	v_sub_nc_u16 v31, v0, v31
	v_mad_u32_u24 v37, 0x2d8, v37, 0
	s_delay_alu instid0(VALU_DEP_2) | instskip(NEXT) | instid1(VALU_DEP_1)
	v_and_b32_e32 v38, 0xff, v31
	v_mul_u32_u24_e32 v31, 6, v38
	v_lshlrev_b32_e32 v38, 2, v38
	s_delay_alu instid0(VALU_DEP_2) | instskip(NEXT) | instid1(VALU_DEP_2)
	v_lshlrev_b32_e32 v35, 2, v31
	v_add3_u32 v37, v37, v38, v3
	s_clause 0x1
	global_load_b128 v[31:34], v35, s[4:5] offset:52
	global_load_b64 v[35:36], v35, s[4:5] offset:68
	global_wb scope:SCOPE_SE
	s_wait_loadcnt 0x0
	s_barrier_signal -1
	s_barrier_wait -1
	global_inv scope:SCOPE_SE
	v_lshrrev_b32_e32 v38, 16, v31
	v_lshrrev_b32_e32 v46, 16, v32
	;; [unrolled: 1-line block ×6, first 2 shown]
	v_mul_f16_e32 v51, v38, v39
	v_mul_f16_e32 v38, v38, v16
	;; [unrolled: 1-line block ×12, first 2 shown]
	v_fma_f16 v16, v31, v16, -v51
	v_fmac_f16_e32 v38, v31, v39
	v_fma_f16 v17, v32, v17, -v52
	v_fmac_f16_e32 v46, v32, v40
	;; [unrolled: 2-line block ×6, first 2 shown]
	v_add_f16_e32 v31, v16, v13
	v_add_f16_e32 v32, v38, v50
	;; [unrolled: 1-line block ×4, first 2 shown]
	v_sub_f16_e32 v13, v16, v13
	v_sub_f16_e32 v16, v38, v50
	;; [unrolled: 1-line block ×4, first 2 shown]
	v_add_f16_e32 v35, v14, v15
	v_add_f16_e32 v36, v47, v48
	v_sub_f16_e32 v14, v15, v14
	v_sub_f16_e32 v15, v48, v47
	v_add_f16_e32 v38, v33, v31
	v_add_f16_e32 v39, v34, v32
	v_sub_f16_e32 v40, v33, v31
	v_sub_f16_e32 v41, v34, v32
	;; [unrolled: 1-line block ×6, first 2 shown]
	v_add_f16_e32 v42, v14, v12
	v_add_f16_e32 v43, v15, v17
	v_sub_f16_e32 v44, v14, v12
	v_sub_f16_e32 v46, v15, v17
	;; [unrolled: 1-line block ×4, first 2 shown]
	v_add_f16_e32 v35, v35, v38
	v_add_f16_e32 v36, v36, v39
	v_sub_f16_e32 v14, v13, v14
	v_sub_f16_e32 v15, v16, v15
	v_add_f16_e32 v13, v42, v13
	v_add_f16_e32 v16, v43, v16
	v_mul_f16_e32 v31, 0x3a52, v31
	v_mul_f16_e32 v32, 0x3a52, v32
	;; [unrolled: 1-line block ×8, first 2 shown]
	v_add_f16_e32 v30, v35, v30
	v_add_f16_e32 v45, v36, v45
	v_fmamk_f16 v33, v33, 0x2b26, v31
	v_fmamk_f16 v34, v34, 0x2b26, v32
	v_fma_f16 v38, v40, 0x39e0, -v38
	v_fma_f16 v39, v41, 0x39e0, -v39
	;; [unrolled: 1-line block ×4, first 2 shown]
	v_fmamk_f16 v40, v14, 0x3574, v42
	v_fmamk_f16 v41, v15, 0x3574, v43
	v_fma_f16 v12, v12, 0x3b00, -v42
	v_fma_f16 v17, v17, 0x3b00, -v43
	;; [unrolled: 1-line block ×4, first 2 shown]
	v_fmamk_f16 v35, v35, 0xbcab, v30
	v_fmamk_f16 v36, v36, 0xbcab, v45
	v_fmac_f16_e32 v40, 0x370e, v13
	v_fmac_f16_e32 v41, 0x370e, v16
	;; [unrolled: 1-line block ×6, first 2 shown]
	v_pack_b32_f16 v13, v30, v45
	v_add_f16_e32 v16, v33, v35
	v_add_f16_e32 v30, v34, v36
	;; [unrolled: 1-line block ×7, first 2 shown]
	v_sub_f16_e32 v36, v30, v40
	v_add_f16_e32 v38, v15, v31
	v_sub_f16_e32 v39, v32, v14
	v_sub_f16_e32 v42, v33, v17
	v_add_f16_e32 v43, v12, v34
	v_add_f16_e32 v17, v17, v33
	v_sub_f16_e32 v12, v34, v12
	v_sub_f16_e32 v15, v31, v15
	v_add_f16_e32 v14, v14, v32
	v_sub_f16_e32 v16, v16, v41
	v_add_f16_e32 v30, v40, v30
	v_pack_b32_f16 v31, v35, v36
	v_pack_b32_f16 v32, v38, v39
	v_pack_b32_f16 v33, v42, v43
	v_pack_b32_f16 v12, v17, v12
	v_pack_b32_f16 v14, v15, v14
	v_pack_b32_f16 v15, v16, v30
	ds_store_2addr_b32 v37, v13, v31 offset1:26
	ds_store_2addr_b32 v37, v32, v33 offset0:52 offset1:78
	ds_store_2addr_b32 v37, v12, v14 offset0:104 offset1:130
	ds_store_b32 v37, v15 offset:624
	s_and_saveexec_b32 s1, s0
	s_cbranch_execz .LBB0_23
; %bb.22:
	v_lshrrev_b16 v20, 11, v20
	s_delay_alu instid0(VALU_DEP_1) | instskip(SKIP_1) | instid1(VALU_DEP_2)
	v_mul_lo_u16 v12, v20, 26
	v_and_b32_e32 v20, 0xffff, v20
	v_sub_nc_u16 v12, v18, v12
	s_delay_alu instid0(VALU_DEP_2) | instskip(NEXT) | instid1(VALU_DEP_2)
	v_mad_u32_u24 v20, 0x2d8, v20, 0
	v_and_b32_e32 v30, 0xff, v12
	s_delay_alu instid0(VALU_DEP_1) | instskip(SKIP_1) | instid1(VALU_DEP_2)
	v_mul_u32_u24_e32 v12, 6, v30
	v_lshlrev_b32_e32 v30, 2, v30
	v_lshlrev_b32_e32 v16, 2, v12
	s_delay_alu instid0(VALU_DEP_2)
	v_add3_u32 v3, v20, v30, v3
	s_clause 0x1
	global_load_b128 v[12:15], v16, s[4:5] offset:52
	global_load_b64 v[16:17], v16, s[4:5] offset:68
	s_wait_loadcnt 0x1
	v_lshrrev_b32_e32 v20, 16, v12
	v_lshrrev_b32_e32 v30, 16, v13
	s_wait_loadcnt 0x0
	v_lshrrev_b32_e32 v31, 16, v17
	v_lshrrev_b32_e32 v34, 16, v16
	;; [unrolled: 1-line block ×4, first 2 shown]
	v_mul_f16_e32 v35, v27, v20
	v_mul_f16_e32 v36, v28, v31
	;; [unrolled: 1-line block ×12, first 2 shown]
	v_fma_f16 v11, v11, v12, -v35
	v_fma_f16 v29, v29, v17, -v36
	v_fma_f16 v8, v8, v13, -v39
	v_fma_f16 v7, v7, v16, -v40
	v_fmac_f16_e32 v31, v28, v17
	v_fmac_f16_e32 v20, v27, v12
	;; [unrolled: 1-line block ×4, first 2 shown]
	v_fma_f16 v6, v6, v15, -v37
	v_fma_f16 v9, v9, v14, -v38
	v_fmac_f16_e32 v33, v25, v14
	v_fmac_f16_e32 v32, v24, v15
	v_sub_f16_e32 v12, v11, v29
	v_sub_f16_e32 v14, v8, v7
	v_add_f16_e32 v15, v20, v31
	v_add_f16_e32 v17, v30, v34
	;; [unrolled: 1-line block ×4, first 2 shown]
	v_sub_f16_e32 v13, v6, v9
	v_add_f16_e32 v16, v33, v32
	v_add_f16_e32 v6, v9, v6
	v_sub_f16_e32 v8, v20, v31
	v_sub_f16_e32 v9, v32, v33
	;; [unrolled: 1-line block ×3, first 2 shown]
	v_add_f16_e32 v27, v17, v15
	v_add_f16_e32 v30, v7, v11
	v_sub_f16_e32 v21, v12, v13
	v_sub_f16_e32 v24, v13, v14
	v_add_f16_e32 v13, v13, v14
	v_sub_f16_e32 v25, v15, v16
	v_sub_f16_e32 v26, v16, v17
	;; [unrolled: 1-line block ×6, first 2 shown]
	v_add_f16_e32 v9, v9, v20
	v_sub_f16_e32 v14, v14, v12
	v_sub_f16_e32 v7, v7, v11
	;; [unrolled: 1-line block ×3, first 2 shown]
	v_add_f16_e32 v16, v16, v27
	v_add_f16_e32 v6, v6, v30
	v_sub_f16_e32 v15, v17, v15
	v_mul_f16_e32 v17, 0xb846, v24
	v_add_f16_e32 v12, v13, v12
	v_mul_f16_e32 v13, 0x3a52, v25
	v_mul_f16_e32 v24, 0x3a52, v28
	;; [unrolled: 1-line block ×3, first 2 shown]
	v_add_f16_e32 v8, v9, v8
	v_mul_f16_e32 v9, 0x3b00, v14
	v_mul_f16_e32 v28, 0x3b00, v11
	v_add_f16_e32 v19, v19, v16
	v_add_f16_e32 v10, v10, v6
	v_mul_f16_e32 v20, 0x2b26, v26
	v_mul_f16_e32 v25, 0x2b26, v29
	v_fmamk_f16 v30, v21, 0x3574, v17
	v_fmamk_f16 v26, v26, 0x2b26, v13
	;; [unrolled: 1-line block ×4, first 2 shown]
	v_fma_f16 v9, v21, 0xb574, -v9
	v_fma_f16 v21, v7, 0xb9e0, -v24
	;; [unrolled: 1-line block ×5, first 2 shown]
	v_fmamk_f16 v16, v16, 0xbcab, v19
	v_fmamk_f16 v6, v6, 0xbcab, v10
	v_fma_f16 v13, v15, 0xb9e0, -v13
	v_fma_f16 v15, v15, 0x39e0, -v20
	;; [unrolled: 1-line block ×3, first 2 shown]
	v_fmac_f16_e32 v30, 0x370e, v12
	v_fmac_f16_e32 v32, 0x370e, v8
	;; [unrolled: 1-line block ×6, first 2 shown]
	v_pack_b32_f16 v8, v10, v19
	v_add_f16_e32 v10, v26, v16
	v_add_f16_e32 v12, v29, v6
	;; [unrolled: 1-line block ×7, first 2 shown]
	v_sub_f16_e32 v16, v12, v32
	v_sub_f16_e32 v10, v10, v30
	v_add_f16_e32 v12, v32, v12
	v_add_f16_e32 v19, v9, v13
	v_sub_f16_e32 v20, v15, v14
	v_add_f16_e32 v14, v14, v15
	v_sub_f16_e32 v9, v13, v9
	;; [unrolled: 2-line block ×4, first 2 shown]
	v_pack_b32_f16 v10, v12, v10
	v_pack_b32_f16 v9, v13, v9
	;; [unrolled: 1-line block ×6, first 2 shown]
	ds_store_2addr_b32 v3, v8, v10 offset1:26
	ds_store_2addr_b32 v3, v9, v12 offset0:52 offset1:78
	ds_store_2addr_b32 v3, v6, v11 offset0:104 offset1:130
	ds_store_b32 v3, v7 offset:624
.LBB0_23:
	s_wait_alu 0xfffe
	s_or_b32 exec_lo, exec_lo, s1
	v_mov_b32_e32 v3, 0
	global_wb scope:SCOPE_SE
	s_wait_dscnt 0x0
	s_barrier_signal -1
	s_barrier_wait -1
	global_inv scope:SCOPE_SE
	v_lshlrev_b64_e32 v[6:7], 2, v[2:3]
	v_lshlrev_b32_e32 v2, 2, v18
	v_add_nc_u32_e32 v16, 0x600, v1
	v_add_nc_u32_e32 v24, 0x800, v1
	;; [unrolled: 1-line block ×4, first 2 shown]
	v_lshlrev_b64_e32 v[10:11], 2, v[2:3]
	v_add_co_u32 v6, s0, s4, v6
	s_wait_alu 0xf1ff
	v_add_co_ci_u32_e64 v7, s0, s5, v7, s0
	v_add_nc_u32_e32 v27, 0x900, v1
	s_delay_alu instid0(VALU_DEP_4)
	v_add_co_u32 v10, s0, s4, v10
	global_load_b128 v[6:9], v[6:7], off offset:676
	s_wait_alu 0xf1ff
	v_add_co_ci_u32_e64 v11, s0, s5, v11, s0
	global_load_b128 v[10:13], v[10:11], off offset:676
	ds_load_b32 v2, v23
	ds_load_2addr_b32 v[14:15], v1 offset0:91 offset1:182
	ds_load_b32 v23, v1 offset:3276
	ds_load_2addr_b32 v[16:17], v16 offset0:71 offset1:162
	ds_load_2addr_b32 v[18:19], v24 offset0:125 offset1:216
	;; [unrolled: 1-line block ×3, first 2 shown]
	global_wb scope:SCOPE_SE
	s_wait_loadcnt_dscnt 0x0
	s_barrier_signal -1
	s_barrier_wait -1
	global_inv scope:SCOPE_SE
	v_lshrrev_b32_e32 v28, 16, v2
	v_lshrrev_b32_e32 v31, 16, v15
	;; [unrolled: 1-line block ×14, first 2 shown]
	s_delay_alu instid0(VALU_DEP_4)
	v_mul_f16_e32 v42, v37, v31
	v_mul_f16_e32 v37, v37, v15
	;; [unrolled: 1-line block ×8, first 2 shown]
	v_lshrrev_b32_e32 v46, 16, v10
	v_lshrrev_b32_e32 v47, 16, v11
	;; [unrolled: 1-line block ×4, first 2 shown]
	v_fma_f16 v15, v6, v15, -v42
	v_fmac_f16_e32 v37, v6, v31
	v_fma_f16 v6, v7, v21, -v43
	v_fmac_f16_e32 v39, v7, v34
	;; [unrolled: 2-line block ×4, first 2 shown]
	v_mul_f16_e32 v9, v46, v38
	v_mul_f16_e32 v17, v46, v20
	;; [unrolled: 1-line block ×8, first 2 shown]
	v_fma_f16 v9, v10, v20, -v9
	v_fmac_f16_e32 v17, v10, v38
	v_fma_f16 v10, v16, v11, -v19
	v_fmac_f16_e32 v21, v32, v11
	;; [unrolled: 2-line block ×4, first 2 shown]
	v_add_f16_e32 v13, v2, v15
	v_add_f16_e32 v16, v6, v7
	v_sub_f16_e32 v20, v15, v6
	v_sub_f16_e32 v23, v8, v7
	v_add_f16_e32 v30, v15, v8
	v_sub_f16_e32 v31, v6, v15
	v_sub_f16_e32 v32, v7, v8
	v_add_f16_e32 v33, v28, v37
	v_add_f16_e32 v35, v39, v40
	v_sub_f16_e32 v42, v37, v39
	v_sub_f16_e32 v43, v41, v40
	v_add_f16_e32 v44, v37, v41
	v_sub_f16_e32 v18, v37, v41
	v_sub_f16_e32 v19, v39, v40
	;; [unrolled: 1-line block ×5, first 2 shown]
	v_add_f16_e32 v6, v13, v6
	v_fma_f16 v13, -0.5, v16, v2
	v_add_f16_e32 v16, v20, v23
	v_fmac_f16_e32 v2, -0.5, v30
	v_add_f16_e32 v20, v31, v32
	v_add_f16_e32 v23, v33, v39
	v_fma_f16 v30, -0.5, v35, v28
	v_add_f16_e32 v31, v42, v43
	v_fmac_f16_e32 v28, -0.5, v44
	v_add_f16_e32 v33, v14, v9
	v_add_f16_e32 v35, v10, v11
	v_sub_f16_e32 v42, v9, v10
	v_sub_f16_e32 v43, v12, v11
	v_add_f16_e32 v44, v9, v12
	v_add_f16_e32 v47, v29, v17
	;; [unrolled: 1-line block ×4, first 2 shown]
	v_sub_f16_e32 v15, v15, v8
	v_add_f16_e32 v32, v37, v45
	v_sub_f16_e32 v37, v17, v36
	v_sub_f16_e32 v39, v21, v34
	;; [unrolled: 1-line block ×7, first 2 shown]
	v_add_f16_e32 v6, v6, v7
	v_fmamk_f16 v7, v18, 0x3b9c, v13
	v_fmac_f16_e32 v13, 0xbb9c, v18
	v_fmamk_f16 v54, v19, 0xbb9c, v2
	v_fmac_f16_e32 v2, 0x3b9c, v19
	;; [unrolled: 2-line block ×3, first 2 shown]
	v_add_f16_e32 v10, v33, v10
	v_fma_f16 v33, -0.5, v35, v14
	v_add_f16_e32 v35, v42, v43
	v_fmac_f16_e32 v14, -0.5, v44
	v_add_f16_e32 v21, v47, v21
	v_fma_f16 v43, -0.5, v48, v29
	v_fmac_f16_e32 v29, -0.5, v52
	v_add_f16_e32 v23, v23, v40
	v_fmamk_f16 v40, v15, 0xbb9c, v30
	v_fmac_f16_e32 v30, 0x3b9c, v15
	v_sub_f16_e32 v46, v11, v12
	v_sub_f16_e32 v51, v36, v34
	v_sub_f16_e32 v53, v34, v36
	v_fmac_f16_e32 v7, 0x38b4, v19
	v_fmac_f16_e32 v13, 0xb8b4, v19
	;; [unrolled: 1-line block ×6, first 2 shown]
	v_add_f16_e32 v10, v10, v11
	v_fmamk_f16 v11, v37, 0x3b9c, v33
	v_fmamk_f16 v15, v39, 0xbb9c, v14
	v_add_f16_e32 v18, v21, v34
	v_fmamk_f16 v19, v9, 0xbb9c, v43
	v_fmamk_f16 v21, v49, 0x3b9c, v29
	v_fmac_f16_e32 v33, 0xbb9c, v37
	v_fmac_f16_e32 v14, 0x3b9c, v39
	;; [unrolled: 1-line block ×6, first 2 shown]
	v_add_f16_e32 v42, v45, v46
	v_add_f16_e32 v44, v50, v51
	;; [unrolled: 1-line block ×3, first 2 shown]
	v_fmac_f16_e32 v11, 0x38b4, v39
	v_fmac_f16_e32 v15, 0x38b4, v37
	;; [unrolled: 1-line block ×8, first 2 shown]
	v_add_f16_e32 v6, v6, v8
	v_add_f16_e32 v8, v23, v41
	v_fmac_f16_e32 v7, 0x34f2, v16
	v_fmac_f16_e32 v54, 0x34f2, v20
	;; [unrolled: 1-line block ×8, first 2 shown]
	v_add_f16_e32 v10, v10, v12
	v_add_f16_e32 v12, v18, v36
	v_fmac_f16_e32 v11, 0x34f2, v35
	v_fmac_f16_e32 v15, 0x34f2, v42
	;; [unrolled: 1-line block ×8, first 2 shown]
	v_pack_b32_f16 v6, v6, v8
	v_pack_b32_f16 v7, v7, v40
	;; [unrolled: 1-line block ×10, first 2 shown]
	ds_store_2addr_b32 v26, v7, v8 offset0:54 offset1:236
	ds_store_2addr_b32 v24, v2, v9 offset0:34 offset1:216
	ds_store_2addr_b32 v1, v6, v10 offset1:91
	ds_store_2addr_b32 v25, v11, v12 offset0:17 offset1:199
	ds_store_2addr_b32 v27, v13, v14 offset0:61 offset1:243
	global_wb scope:SCOPE_SE
	s_wait_dscnt 0x0
	s_barrier_signal -1
	s_barrier_wait -1
	global_inv scope:SCOPE_SE
	s_and_saveexec_b32 s0, vcc_lo
	s_cbranch_execz .LBB0_25
; %bb.24:
	v_dual_mov_b32 v1, v3 :: v_dual_add_nc_u32 v2, 0x5b, v0
	v_add_co_u32 v32, vcc_lo, s8, v4
	s_wait_alu 0xfffd
	v_add_co_ci_u32_e32 v33, vcc_lo, s9, v5, vcc_lo
	s_delay_alu instid0(VALU_DEP_3) | instskip(SKIP_3) | instid1(VALU_DEP_3)
	v_lshlrev_b64_e32 v[4:5], 2, v[2:3]
	v_add_nc_u32_e32 v2, 0xb6, v0
	v_lshl_add_u32 v28, v0, 2, v22
	v_lshlrev_b64_e32 v[8:9], 2, v[0:1]
	v_lshlrev_b64_e32 v[10:11], 2, v[2:3]
	v_add_nc_u32_e32 v2, 0x111, v0
	s_delay_alu instid0(VALU_DEP_4) | instskip(NEXT) | instid1(VALU_DEP_4)
	v_add_nc_u32_e32 v1, 0x200, v28
	v_add_co_u32 v8, vcc_lo, v32, v8
	s_wait_alu 0xfffd
	v_add_co_ci_u32_e32 v9, vcc_lo, v33, v9, vcc_lo
	v_lshlrev_b64_e32 v[14:15], 2, v[2:3]
	v_add_nc_u32_e32 v2, 0x16c, v0
	ds_load_2addr_b32 v[12:13], v1 offset0:54 offset1:145
	v_add_nc_u32_e32 v1, 0x400, v28
	v_add_co_u32 v4, vcc_lo, v32, v4
	v_lshlrev_b64_e32 v[16:17], 2, v[2:3]
	v_add_nc_u32_e32 v2, 0x1c7, v0
	s_wait_alu 0xfffd
	v_add_co_ci_u32_e32 v5, vcc_lo, v33, v5, vcc_lo
	v_add_co_u32 v10, vcc_lo, v32, v10
	s_delay_alu instid0(VALU_DEP_3)
	v_lshlrev_b64_e32 v[20:21], 2, v[2:3]
	v_add_nc_u32_e32 v2, 0x222, v0
	ds_load_2addr_b32 v[18:19], v1 offset0:108 offset1:199
	v_add_nc_u32_e32 v1, 0x800, v28
	s_wait_alu 0xfffd
	v_add_co_ci_u32_e32 v11, vcc_lo, v33, v11, vcc_lo
	v_lshlrev_b64_e32 v[22:23], 2, v[2:3]
	v_add_nc_u32_e32 v2, 0x27d, v0
	ds_load_2addr_b32 v[6:7], v28 offset1:91
	v_add_co_u32 v14, vcc_lo, v32, v14
	s_wait_alu 0xfffd
	v_add_co_ci_u32_e32 v15, vcc_lo, v33, v15, vcc_lo
	v_lshlrev_b64_e32 v[26:27], 2, v[2:3]
	v_add_nc_u32_e32 v2, 0x2d8, v0
	v_add_co_u32 v16, vcc_lo, v32, v16
	ds_load_2addr_b32 v[24:25], v1 offset0:34 offset1:125
	v_add_nc_u32_e32 v1, 0xa00, v28
	s_wait_alu 0xfffd
	v_add_co_ci_u32_e32 v17, vcc_lo, v33, v17, vcc_lo
	v_add_co_u32 v20, vcc_lo, v32, v20
	v_lshlrev_b64_e32 v[30:31], 2, v[2:3]
	v_add_nc_u32_e32 v2, 0x333, v0
	s_wait_alu 0xfffd
	v_add_co_ci_u32_e32 v21, vcc_lo, v33, v21, vcc_lo
	ds_load_2addr_b32 v[28:29], v1 offset0:88 offset1:179
	v_add_co_u32 v22, vcc_lo, v32, v22
	s_wait_alu 0xfffd
	v_add_co_ci_u32_e32 v23, vcc_lo, v33, v23, vcc_lo
	v_add_co_u32 v0, vcc_lo, v32, v26
	v_lshlrev_b64_e32 v[2:3], 2, v[2:3]
	s_wait_alu 0xfffd
	v_add_co_ci_u32_e32 v1, vcc_lo, v33, v27, vcc_lo
	v_add_co_u32 v26, vcc_lo, v32, v30
	s_wait_alu 0xfffd
	v_add_co_ci_u32_e32 v27, vcc_lo, v33, v31, vcc_lo
	v_add_co_u32 v2, vcc_lo, v32, v2
	s_wait_alu 0xfffd
	v_add_co_ci_u32_e32 v3, vcc_lo, v33, v3, vcc_lo
	s_wait_dscnt 0x2
	s_clause 0x5
	global_store_b32 v[8:9], v6, off
	global_store_b32 v[4:5], v7, off
	;; [unrolled: 1-line block ×6, first 2 shown]
	s_wait_dscnt 0x1
	s_clause 0x1
	global_store_b32 v[22:23], v24, off
	global_store_b32 v[0:1], v25, off
	s_wait_dscnt 0x0
	s_clause 0x1
	global_store_b32 v[26:27], v28, off
	global_store_b32 v[2:3], v29, off
.LBB0_25:
	s_nop 0
	s_sendmsg sendmsg(MSG_DEALLOC_VGPRS)
	s_endpgm
	.section	.rodata,"a",@progbits
	.p2align	6, 0x0
	.amdhsa_kernel fft_rtc_fwd_len910_factors_13_2_7_5_wgs_182_tpt_91_half_ip_CI_unitstride_sbrr_C2R_dirReg
		.amdhsa_group_segment_fixed_size 0
		.amdhsa_private_segment_fixed_size 0
		.amdhsa_kernarg_size 88
		.amdhsa_user_sgpr_count 2
		.amdhsa_user_sgpr_dispatch_ptr 0
		.amdhsa_user_sgpr_queue_ptr 0
		.amdhsa_user_sgpr_kernarg_segment_ptr 1
		.amdhsa_user_sgpr_dispatch_id 0
		.amdhsa_user_sgpr_private_segment_size 0
		.amdhsa_wavefront_size32 1
		.amdhsa_uses_dynamic_stack 0
		.amdhsa_enable_private_segment 0
		.amdhsa_system_sgpr_workgroup_id_x 1
		.amdhsa_system_sgpr_workgroup_id_y 0
		.amdhsa_system_sgpr_workgroup_id_z 0
		.amdhsa_system_sgpr_workgroup_info 0
		.amdhsa_system_vgpr_workitem_id 0
		.amdhsa_next_free_vgpr 118
		.amdhsa_next_free_sgpr 32
		.amdhsa_reserve_vcc 1
		.amdhsa_float_round_mode_32 0
		.amdhsa_float_round_mode_16_64 0
		.amdhsa_float_denorm_mode_32 3
		.amdhsa_float_denorm_mode_16_64 3
		.amdhsa_fp16_overflow 0
		.amdhsa_workgroup_processor_mode 1
		.amdhsa_memory_ordered 1
		.amdhsa_forward_progress 0
		.amdhsa_round_robin_scheduling 0
		.amdhsa_exception_fp_ieee_invalid_op 0
		.amdhsa_exception_fp_denorm_src 0
		.amdhsa_exception_fp_ieee_div_zero 0
		.amdhsa_exception_fp_ieee_overflow 0
		.amdhsa_exception_fp_ieee_underflow 0
		.amdhsa_exception_fp_ieee_inexact 0
		.amdhsa_exception_int_div_zero 0
	.end_amdhsa_kernel
	.text
.Lfunc_end0:
	.size	fft_rtc_fwd_len910_factors_13_2_7_5_wgs_182_tpt_91_half_ip_CI_unitstride_sbrr_C2R_dirReg, .Lfunc_end0-fft_rtc_fwd_len910_factors_13_2_7_5_wgs_182_tpt_91_half_ip_CI_unitstride_sbrr_C2R_dirReg
                                        ; -- End function
	.section	.AMDGPU.csdata,"",@progbits
; Kernel info:
; codeLenInByte = 10528
; NumSgprs: 34
; NumVgprs: 118
; ScratchSize: 0
; MemoryBound: 0
; FloatMode: 240
; IeeeMode: 1
; LDSByteSize: 0 bytes/workgroup (compile time only)
; SGPRBlocks: 4
; VGPRBlocks: 14
; NumSGPRsForWavesPerEU: 34
; NumVGPRsForWavesPerEU: 118
; Occupancy: 12
; WaveLimiterHint : 1
; COMPUTE_PGM_RSRC2:SCRATCH_EN: 0
; COMPUTE_PGM_RSRC2:USER_SGPR: 2
; COMPUTE_PGM_RSRC2:TRAP_HANDLER: 0
; COMPUTE_PGM_RSRC2:TGID_X_EN: 1
; COMPUTE_PGM_RSRC2:TGID_Y_EN: 0
; COMPUTE_PGM_RSRC2:TGID_Z_EN: 0
; COMPUTE_PGM_RSRC2:TIDIG_COMP_CNT: 0
	.text
	.p2alignl 7, 3214868480
	.fill 96, 4, 3214868480
	.type	__hip_cuid_213c521bd5c60ec4,@object ; @__hip_cuid_213c521bd5c60ec4
	.section	.bss,"aw",@nobits
	.globl	__hip_cuid_213c521bd5c60ec4
__hip_cuid_213c521bd5c60ec4:
	.byte	0                               ; 0x0
	.size	__hip_cuid_213c521bd5c60ec4, 1

	.ident	"AMD clang version 19.0.0git (https://github.com/RadeonOpenCompute/llvm-project roc-6.4.0 25133 c7fe45cf4b819c5991fe208aaa96edf142730f1d)"
	.section	".note.GNU-stack","",@progbits
	.addrsig
	.addrsig_sym __hip_cuid_213c521bd5c60ec4
	.amdgpu_metadata
---
amdhsa.kernels:
  - .args:
      - .actual_access:  read_only
        .address_space:  global
        .offset:         0
        .size:           8
        .value_kind:     global_buffer
      - .offset:         8
        .size:           8
        .value_kind:     by_value
      - .actual_access:  read_only
        .address_space:  global
        .offset:         16
        .size:           8
        .value_kind:     global_buffer
      - .actual_access:  read_only
        .address_space:  global
        .offset:         24
        .size:           8
        .value_kind:     global_buffer
      - .offset:         32
        .size:           8
        .value_kind:     by_value
      - .actual_access:  read_only
        .address_space:  global
        .offset:         40
        .size:           8
        .value_kind:     global_buffer
      - .actual_access:  read_only
        .address_space:  global
        .offset:         48
        .size:           8
        .value_kind:     global_buffer
      - .offset:         56
        .size:           4
        .value_kind:     by_value
      - .actual_access:  read_only
        .address_space:  global
        .offset:         64
        .size:           8
        .value_kind:     global_buffer
      - .actual_access:  read_only
        .address_space:  global
        .offset:         72
        .size:           8
        .value_kind:     global_buffer
      - .address_space:  global
        .offset:         80
        .size:           8
        .value_kind:     global_buffer
    .group_segment_fixed_size: 0
    .kernarg_segment_align: 8
    .kernarg_segment_size: 88
    .language:       OpenCL C
    .language_version:
      - 2
      - 0
    .max_flat_workgroup_size: 182
    .name:           fft_rtc_fwd_len910_factors_13_2_7_5_wgs_182_tpt_91_half_ip_CI_unitstride_sbrr_C2R_dirReg
    .private_segment_fixed_size: 0
    .sgpr_count:     34
    .sgpr_spill_count: 0
    .symbol:         fft_rtc_fwd_len910_factors_13_2_7_5_wgs_182_tpt_91_half_ip_CI_unitstride_sbrr_C2R_dirReg.kd
    .uniform_work_group_size: 1
    .uses_dynamic_stack: false
    .vgpr_count:     118
    .vgpr_spill_count: 0
    .wavefront_size: 32
    .workgroup_processor_mode: 1
amdhsa.target:   amdgcn-amd-amdhsa--gfx1201
amdhsa.version:
  - 1
  - 2
...

	.end_amdgpu_metadata
